;; amdgpu-corpus repo=zjin-lcf/HeCBench kind=compiled arch=gfx1250 opt=O3
	.amdgcn_target "amdgcn-amd-amdhsa--gfx1250"
	.amdhsa_code_object_version 6
	.section	.text._Z8bincountIifiL16DeviceMemoryType0EEvPT_PKT0_T1_S3_S3_S6_S6_,"axG",@progbits,_Z8bincountIifiL16DeviceMemoryType0EEvPT_PKT0_T1_S3_S3_S6_S6_,comdat
	.protected	_Z8bincountIifiL16DeviceMemoryType0EEvPT_PKT0_T1_S3_S3_S6_S6_ ; -- Begin function _Z8bincountIifiL16DeviceMemoryType0EEvPT_PKT0_T1_S3_S3_S6_S6_
	.globl	_Z8bincountIifiL16DeviceMemoryType0EEvPT_PKT0_T1_S3_S3_S6_S6_
	.p2align	8
	.type	_Z8bincountIifiL16DeviceMemoryType0EEvPT_PKT0_T1_S3_S3_S6_S6_,@function
_Z8bincountIifiL16DeviceMemoryType0EEvPT_PKT0_T1_S3_S3_S6_S6_: ; @_Z8bincountIifiL16DeviceMemoryType0EEvPT_PKT0_T1_S3_S3_S6_S6_
; %bb.0:
	s_load_b128 s[4:7], s[0:1], 0x10
	s_add_nc_u64 s[12:13], s[0:1], 40
	s_mov_b32 s3, exec_lo
                                        ; implicit-def: $sgpr8
	s_wait_kmcnt 0x0
	v_cmp_gt_i32_e64 s2, s4, v0
	v_cmpx_le_i32_e64 s4, v0
	s_xor_b32 s3, exec_lo, s3
	s_cbranch_execz .LBB0_2
; %bb.1:
	s_load_b32 s8, s[12:13], 0xc
	s_wait_kmcnt 0x0
	s_and_b32 s8, s8, 0xffff
.LBB0_2:
	s_or_saveexec_b32 s3, s3
	v_mov_b32_e32 v2, s8
	v_lshl_add_u32 v1, v0, 2, 0
	s_xor_b32 exec_lo, exec_lo, s3
	s_cbranch_execz .LBB0_6
; %bb.3:
	s_load_b32 s8, s[12:13], 0xc
	v_lshl_add_u32 v2, v0, 2, 0
	v_dual_mov_b32 v3, 0 :: v_dual_mov_b32 v4, v0
	s_mov_b32 s9, 0
	s_wait_kmcnt 0x0
	s_and_b32 s8, s8, 0xffff
	s_delay_alu instid0(SALU_CYCLE_1)
	s_lshl_b32 s10, s8, 2
.LBB0_4:                                ; =>This Inner Loop Header: Depth=1
	v_add_nc_u32_e32 v4, s8, v4
	ds_store_b32 v2, v3
	v_add_nc_u32_e32 v2, s10, v2
	v_cmp_le_i32_e32 vcc_lo, s4, v4
	s_or_b32 s9, vcc_lo, s9
	s_delay_alu instid0(SALU_CYCLE_1)
	s_and_not1_b32 exec_lo, exec_lo, s9
	s_cbranch_execnz .LBB0_4
; %bb.5:
	s_or_b32 exec_lo, exec_lo, s9
	v_mov_b32_e32 v2, s8
.LBB0_6:
	s_or_b32 exec_lo, exec_lo, s3
	s_bfe_u32 s3, ttmp6, 0x4000c
	s_load_b128 s[8:11], s[0:1], 0x0
	s_add_co_i32 s3, s3, 1
	s_wait_xcnt 0x0
	s_and_b32 s0, ttmp6, 15
	s_mul_i32 s1, ttmp9, s3
	s_getreg_b32 s3, hwreg(HW_REG_IB_STS2, 6, 4)
	s_add_co_i32 s0, s0, s1
	s_cmp_eq_u32 s3, 0
	s_mov_b32 s1, 0
	s_cselect_b32 s0, ttmp9, s0
	s_mov_b32 s3, exec_lo
	v_mad_u32 v3, s0, v2, v0
	s_wait_dscnt 0x0
	s_barrier_signal -1
	s_barrier_wait -1
	s_delay_alu instid0(VALU_DEP_1)
	v_cmpx_gt_i32_e64 s7, v3
	s_cbranch_execz .LBB0_11
; %bb.7:
	s_load_b32 s0, s[12:13], 0x0
	v_mov_b32_e32 v5, 1
	s_wait_xcnt 0x0
	s_cvt_f32_i32 s12, s4
	s_sub_f32 s13, s6, s5
	s_wait_kmcnt 0x0
	v_mul_lo_u32 v4, s0, v2
	s_branch .LBB0_9
.LBB0_8:                                ;   in Loop: Header=BB0_9 Depth=1
	s_or_b32 exec_lo, exec_lo, s0
	v_add_nc_u32_e32 v3, v3, v4
	s_delay_alu instid0(VALU_DEP_1) | instskip(SKIP_1) | instid1(SALU_CYCLE_1)
	v_cmp_le_i32_e32 vcc_lo, s7, v3
	s_or_b32 s1, vcc_lo, s1
	s_and_not1_b32 exec_lo, exec_lo, s1
	s_cbranch_execz .LBB0_11
.LBB0_9:                                ; =>This Inner Loop Header: Depth=1
	global_load_b32 v6, v3, s[10:11] scale_offset
	s_wait_loadcnt 0x0
	v_cmp_le_f32_e32 vcc_lo, s5, v6
	v_cmp_ge_f32_e64 s0, s6, v6
	s_and_b32 s14, vcc_lo, s0
	s_wait_xcnt 0x0
	s_and_saveexec_b32 s0, s14
	s_cbranch_execz .LBB0_8
; %bb.10:                               ;   in Loop: Header=BB0_9 Depth=1
	v_subrev_f32_e32 v6, s5, v6
	s_delay_alu instid0(VALU_DEP_1) | instskip(NEXT) | instid1(VALU_DEP_1)
	v_mul_f32_e32 v6, s12, v6
	v_div_scale_f32 v7, null, s13, s13, v6
	v_div_scale_f32 v10, vcc_lo, v6, s13, v6
	s_delay_alu instid0(VALU_DEP_2) | instskip(SKIP_1) | instid1(TRANS32_DEP_1)
	v_rcp_f32_e32 v8, v7
	v_nop
	v_fma_f32 v9, -v7, v8, 1.0
	s_delay_alu instid0(VALU_DEP_1) | instskip(NEXT) | instid1(VALU_DEP_1)
	v_fmac_f32_e32 v8, v9, v8
	v_mul_f32_e32 v9, v10, v8
	s_delay_alu instid0(VALU_DEP_1) | instskip(NEXT) | instid1(VALU_DEP_1)
	v_fma_f32 v11, -v7, v9, v10
	v_fmac_f32_e32 v9, v11, v8
	s_delay_alu instid0(VALU_DEP_1) | instskip(NEXT) | instid1(VALU_DEP_1)
	v_fma_f32 v7, -v7, v9, v10
	v_div_fmas_f32 v7, v7, v8, v9
	s_delay_alu instid0(VALU_DEP_1) | instskip(NEXT) | instid1(VALU_DEP_1)
	v_div_fixup_f32 v6, v7, s13, v6
	v_cvt_i32_f32_e32 v6, v6
	s_delay_alu instid0(VALU_DEP_1) | instskip(SKIP_2) | instid1(VALU_DEP_1)
	v_cmp_eq_u32_e32 vcc_lo, s4, v6
	v_lshlrev_b32_e32 v6, 2, v6
	v_cndmask_b32_e64 v7, 0, -1, vcc_lo
	v_lshlrev_b32_e32 v7, 2, v7
	s_delay_alu instid0(VALU_DEP_1)
	v_add3_u32 v6, 0, v7, v6
	ds_add_u32 v6, v5
	s_branch .LBB0_8
.LBB0_11:
	s_or_b32 exec_lo, exec_lo, s3
	s_wait_dscnt 0x0
	s_barrier_signal -1
	s_barrier_wait -1
	s_and_saveexec_b32 s0, s2
	s_cbranch_execz .LBB0_14
; %bb.12:
	v_lshlrev_b32_e32 v3, 2, v2
	s_mov_b32 s0, 0
.LBB0_13:                               ; =>This Inner Loop Header: Depth=1
	ds_load_b32 v4, v1
	v_add_nc_u32_e32 v1, v1, v3
	s_wait_dscnt 0x0
	s_wait_kmcnt 0x0
	global_atomic_add_u32 v0, v4, s[8:9] scale_offset scope:SCOPE_DEV
	s_wait_xcnt 0x0
	v_add_nc_u32_e32 v0, v0, v2
	s_delay_alu instid0(VALU_DEP_1) | instskip(SKIP_1) | instid1(SALU_CYCLE_1)
	v_cmp_le_i32_e32 vcc_lo, s4, v0
	s_or_b32 s0, vcc_lo, s0
	s_and_not1_b32 exec_lo, exec_lo, s0
	s_cbranch_execnz .LBB0_13
.LBB0_14:
	s_endpgm
	.section	.rodata,"a",@progbits
	.p2align	6, 0x0
	.amdhsa_kernel _Z8bincountIifiL16DeviceMemoryType0EEvPT_PKT0_T1_S3_S3_S6_S6_
		.amdhsa_group_segment_fixed_size 0
		.amdhsa_private_segment_fixed_size 0
		.amdhsa_kernarg_size 296
		.amdhsa_user_sgpr_count 2
		.amdhsa_user_sgpr_dispatch_ptr 0
		.amdhsa_user_sgpr_queue_ptr 0
		.amdhsa_user_sgpr_kernarg_segment_ptr 1
		.amdhsa_user_sgpr_dispatch_id 0
		.amdhsa_user_sgpr_kernarg_preload_length 0
		.amdhsa_user_sgpr_kernarg_preload_offset 0
		.amdhsa_user_sgpr_private_segment_size 0
		.amdhsa_wavefront_size32 1
		.amdhsa_uses_dynamic_stack 0
		.amdhsa_enable_private_segment 0
		.amdhsa_system_sgpr_workgroup_id_x 1
		.amdhsa_system_sgpr_workgroup_id_y 0
		.amdhsa_system_sgpr_workgroup_id_z 0
		.amdhsa_system_sgpr_workgroup_info 0
		.amdhsa_system_vgpr_workitem_id 0
		.amdhsa_next_free_vgpr 12
		.amdhsa_next_free_sgpr 15
		.amdhsa_named_barrier_count 0
		.amdhsa_reserve_vcc 1
		.amdhsa_float_round_mode_32 0
		.amdhsa_float_round_mode_16_64 0
		.amdhsa_float_denorm_mode_32 3
		.amdhsa_float_denorm_mode_16_64 3
		.amdhsa_fp16_overflow 0
		.amdhsa_memory_ordered 1
		.amdhsa_forward_progress 1
		.amdhsa_inst_pref_size 6
		.amdhsa_round_robin_scheduling 0
		.amdhsa_exception_fp_ieee_invalid_op 0
		.amdhsa_exception_fp_denorm_src 0
		.amdhsa_exception_fp_ieee_div_zero 0
		.amdhsa_exception_fp_ieee_overflow 0
		.amdhsa_exception_fp_ieee_underflow 0
		.amdhsa_exception_fp_ieee_inexact 0
		.amdhsa_exception_int_div_zero 0
	.end_amdhsa_kernel
	.section	.text._Z8bincountIifiL16DeviceMemoryType0EEvPT_PKT0_T1_S3_S3_S6_S6_,"axG",@progbits,_Z8bincountIifiL16DeviceMemoryType0EEvPT_PKT0_T1_S3_S3_S6_S6_,comdat
.Lfunc_end0:
	.size	_Z8bincountIifiL16DeviceMemoryType0EEvPT_PKT0_T1_S3_S3_S6_S6_, .Lfunc_end0-_Z8bincountIifiL16DeviceMemoryType0EEvPT_PKT0_T1_S3_S3_S6_S6_
                                        ; -- End function
	.set _Z8bincountIifiL16DeviceMemoryType0EEvPT_PKT0_T1_S3_S3_S6_S6_.num_vgpr, 12
	.set _Z8bincountIifiL16DeviceMemoryType0EEvPT_PKT0_T1_S3_S3_S6_S6_.num_agpr, 0
	.set _Z8bincountIifiL16DeviceMemoryType0EEvPT_PKT0_T1_S3_S3_S6_S6_.numbered_sgpr, 15
	.set _Z8bincountIifiL16DeviceMemoryType0EEvPT_PKT0_T1_S3_S3_S6_S6_.num_named_barrier, 0
	.set _Z8bincountIifiL16DeviceMemoryType0EEvPT_PKT0_T1_S3_S3_S6_S6_.private_seg_size, 0
	.set _Z8bincountIifiL16DeviceMemoryType0EEvPT_PKT0_T1_S3_S3_S6_S6_.uses_vcc, 1
	.set _Z8bincountIifiL16DeviceMemoryType0EEvPT_PKT0_T1_S3_S3_S6_S6_.uses_flat_scratch, 0
	.set _Z8bincountIifiL16DeviceMemoryType0EEvPT_PKT0_T1_S3_S3_S6_S6_.has_dyn_sized_stack, 0
	.set _Z8bincountIifiL16DeviceMemoryType0EEvPT_PKT0_T1_S3_S3_S6_S6_.has_recursion, 0
	.set _Z8bincountIifiL16DeviceMemoryType0EEvPT_PKT0_T1_S3_S3_S6_S6_.has_indirect_call, 0
	.section	.AMDGPU.csdata,"",@progbits
; Kernel info:
; codeLenInByte = 644
; TotalNumSgprs: 17
; NumVgprs: 12
; ScratchSize: 0
; MemoryBound: 0
; FloatMode: 240
; IeeeMode: 1
; LDSByteSize: 0 bytes/workgroup (compile time only)
; SGPRBlocks: 0
; VGPRBlocks: 0
; NumSGPRsForWavesPerEU: 17
; NumVGPRsForWavesPerEU: 12
; NamedBarCnt: 0
; Occupancy: 16
; WaveLimiterHint : 0
; COMPUTE_PGM_RSRC2:SCRATCH_EN: 0
; COMPUTE_PGM_RSRC2:USER_SGPR: 2
; COMPUTE_PGM_RSRC2:TRAP_HANDLER: 0
; COMPUTE_PGM_RSRC2:TGID_X_EN: 1
; COMPUTE_PGM_RSRC2:TGID_Y_EN: 0
; COMPUTE_PGM_RSRC2:TGID_Z_EN: 0
; COMPUTE_PGM_RSRC2:TIDIG_COMP_CNT: 0
	.section	.text._Z8bincountIifiL16DeviceMemoryType1EEvPT_PKT0_T1_S3_S3_S6_S6_,"axG",@progbits,_Z8bincountIifiL16DeviceMemoryType1EEvPT_PKT0_T1_S3_S3_S6_S6_,comdat
	.protected	_Z8bincountIifiL16DeviceMemoryType1EEvPT_PKT0_T1_S3_S3_S6_S6_ ; -- Begin function _Z8bincountIifiL16DeviceMemoryType1EEvPT_PKT0_T1_S3_S3_S6_S6_
	.globl	_Z8bincountIifiL16DeviceMemoryType1EEvPT_PKT0_T1_S3_S3_S6_S6_
	.p2align	8
	.type	_Z8bincountIifiL16DeviceMemoryType1EEvPT_PKT0_T1_S3_S3_S6_S6_,@function
_Z8bincountIifiL16DeviceMemoryType1EEvPT_PKT0_T1_S3_S3_S6_S6_: ; @_Z8bincountIifiL16DeviceMemoryType1EEvPT_PKT0_T1_S3_S3_S6_S6_
; %bb.0:
	s_clause 0x1
	s_load_b32 s2, s[0:1], 0x34
	s_load_b128 s[4:7], s[0:1], 0x10
	s_bfe_u32 s3, ttmp6, 0x4000c
	s_and_b32 s8, ttmp6, 15
	s_add_co_i32 s3, s3, 1
	s_getreg_b32 s9, hwreg(HW_REG_IB_STS2, 6, 4)
	s_mul_i32 s3, ttmp9, s3
	s_delay_alu instid0(SALU_CYCLE_1)
	s_add_co_i32 s8, s8, s3
	s_mov_b32 s3, exec_lo
	s_wait_kmcnt 0x0
	s_and_b32 s12, s2, 0xffff
	s_cmp_eq_u32 s9, 0
	s_cselect_b32 s2, ttmp9, s8
	s_delay_alu instid0(SALU_CYCLE_1) | instskip(SKIP_1) | instid1(VALU_DEP_1)
	v_mad_u32 v0, s2, s12, v0
	s_mov_b32 s2, 0
	v_cmpx_gt_i32_e64 s7, v0
	s_cbranch_execz .LBB1_5
; %bb.1:
	s_add_nc_u64 s[14:15], s[0:1], 40
	v_mov_b32_e32 v1, 1
	s_load_b32 s13, s[14:15], 0x0
	s_load_b128 s[8:11], s[0:1], 0x0
	s_wait_xcnt 0x0
	s_cvt_f32_i32 s1, s4
	s_sub_f32 s3, s6, s5
	s_wait_kmcnt 0x0
	s_mul_i32 s12, s13, s12
	s_branch .LBB1_3
.LBB1_2:                                ;   in Loop: Header=BB1_3 Depth=1
	s_wait_xcnt 0x0
	s_or_b32 exec_lo, exec_lo, s0
	v_add_nc_u32_e32 v0, s12, v0
	s_delay_alu instid0(VALU_DEP_1) | instskip(SKIP_1) | instid1(SALU_CYCLE_1)
	v_cmp_le_i32_e32 vcc_lo, s7, v0
	s_or_b32 s2, vcc_lo, s2
	s_and_not1_b32 exec_lo, exec_lo, s2
	s_cbranch_execz .LBB1_5
.LBB1_3:                                ; =>This Inner Loop Header: Depth=1
	global_load_b32 v2, v0, s[10:11] scale_offset
	s_wait_loadcnt 0x0
	v_cmp_le_f32_e32 vcc_lo, s5, v2
	v_cmp_ge_f32_e64 s0, s6, v2
	s_and_b32 s13, vcc_lo, s0
	s_wait_xcnt 0x0
	s_and_saveexec_b32 s0, s13
	s_cbranch_execz .LBB1_2
; %bb.4:                                ;   in Loop: Header=BB1_3 Depth=1
	v_subrev_f32_e32 v2, s5, v2
	s_delay_alu instid0(VALU_DEP_1) | instskip(NEXT) | instid1(VALU_DEP_1)
	v_mul_f32_e32 v2, s1, v2
	v_div_scale_f32 v3, null, s3, s3, v2
	v_div_scale_f32 v6, vcc_lo, v2, s3, v2
	s_delay_alu instid0(VALU_DEP_2) | instskip(SKIP_1) | instid1(TRANS32_DEP_1)
	v_rcp_f32_e32 v4, v3
	v_nop
	v_fma_f32 v5, -v3, v4, 1.0
	s_delay_alu instid0(VALU_DEP_1) | instskip(NEXT) | instid1(VALU_DEP_1)
	v_fmac_f32_e32 v4, v5, v4
	v_mul_f32_e32 v5, v6, v4
	s_delay_alu instid0(VALU_DEP_1) | instskip(NEXT) | instid1(VALU_DEP_1)
	v_fma_f32 v7, -v3, v5, v6
	v_fmac_f32_e32 v5, v7, v4
	s_delay_alu instid0(VALU_DEP_1) | instskip(NEXT) | instid1(VALU_DEP_1)
	v_fma_f32 v3, -v3, v5, v6
	v_div_fmas_f32 v3, v3, v4, v5
	s_delay_alu instid0(VALU_DEP_1) | instskip(NEXT) | instid1(VALU_DEP_1)
	v_div_fixup_f32 v2, v3, s3, v2
	v_cvt_i32_f32_e32 v2, v2
	s_delay_alu instid0(VALU_DEP_1)
	v_cmp_eq_u32_e32 vcc_lo, s4, v2
	v_subrev_co_ci_u32_e64 v2, null, 0, v2, vcc_lo
	global_atomic_add_u32 v2, v1, s[8:9] scale_offset scope:SCOPE_DEV
	s_branch .LBB1_2
.LBB1_5:
	s_endpgm
	.section	.rodata,"a",@progbits
	.p2align	6, 0x0
	.amdhsa_kernel _Z8bincountIifiL16DeviceMemoryType1EEvPT_PKT0_T1_S3_S3_S6_S6_
		.amdhsa_group_segment_fixed_size 0
		.amdhsa_private_segment_fixed_size 0
		.amdhsa_kernarg_size 296
		.amdhsa_user_sgpr_count 2
		.amdhsa_user_sgpr_dispatch_ptr 0
		.amdhsa_user_sgpr_queue_ptr 0
		.amdhsa_user_sgpr_kernarg_segment_ptr 1
		.amdhsa_user_sgpr_dispatch_id 0
		.amdhsa_user_sgpr_kernarg_preload_length 0
		.amdhsa_user_sgpr_kernarg_preload_offset 0
		.amdhsa_user_sgpr_private_segment_size 0
		.amdhsa_wavefront_size32 1
		.amdhsa_uses_dynamic_stack 0
		.amdhsa_enable_private_segment 0
		.amdhsa_system_sgpr_workgroup_id_x 1
		.amdhsa_system_sgpr_workgroup_id_y 0
		.amdhsa_system_sgpr_workgroup_id_z 0
		.amdhsa_system_sgpr_workgroup_info 0
		.amdhsa_system_vgpr_workitem_id 0
		.amdhsa_next_free_vgpr 8
		.amdhsa_next_free_sgpr 16
		.amdhsa_named_barrier_count 0
		.amdhsa_reserve_vcc 1
		.amdhsa_float_round_mode_32 0
		.amdhsa_float_round_mode_16_64 0
		.amdhsa_float_denorm_mode_32 3
		.amdhsa_float_denorm_mode_16_64 3
		.amdhsa_fp16_overflow 0
		.amdhsa_memory_ordered 1
		.amdhsa_forward_progress 1
		.amdhsa_inst_pref_size 3
		.amdhsa_round_robin_scheduling 0
		.amdhsa_exception_fp_ieee_invalid_op 0
		.amdhsa_exception_fp_denorm_src 0
		.amdhsa_exception_fp_ieee_div_zero 0
		.amdhsa_exception_fp_ieee_overflow 0
		.amdhsa_exception_fp_ieee_underflow 0
		.amdhsa_exception_fp_ieee_inexact 0
		.amdhsa_exception_int_div_zero 0
	.end_amdhsa_kernel
	.section	.text._Z8bincountIifiL16DeviceMemoryType1EEvPT_PKT0_T1_S3_S3_S6_S6_,"axG",@progbits,_Z8bincountIifiL16DeviceMemoryType1EEvPT_PKT0_T1_S3_S3_S6_S6_,comdat
.Lfunc_end1:
	.size	_Z8bincountIifiL16DeviceMemoryType1EEvPT_PKT0_T1_S3_S3_S6_S6_, .Lfunc_end1-_Z8bincountIifiL16DeviceMemoryType1EEvPT_PKT0_T1_S3_S3_S6_S6_
                                        ; -- End function
	.set _Z8bincountIifiL16DeviceMemoryType1EEvPT_PKT0_T1_S3_S3_S6_S6_.num_vgpr, 8
	.set _Z8bincountIifiL16DeviceMemoryType1EEvPT_PKT0_T1_S3_S3_S6_S6_.num_agpr, 0
	.set _Z8bincountIifiL16DeviceMemoryType1EEvPT_PKT0_T1_S3_S3_S6_S6_.numbered_sgpr, 16
	.set _Z8bincountIifiL16DeviceMemoryType1EEvPT_PKT0_T1_S3_S3_S6_S6_.num_named_barrier, 0
	.set _Z8bincountIifiL16DeviceMemoryType1EEvPT_PKT0_T1_S3_S3_S6_S6_.private_seg_size, 0
	.set _Z8bincountIifiL16DeviceMemoryType1EEvPT_PKT0_T1_S3_S3_S6_S6_.uses_vcc, 1
	.set _Z8bincountIifiL16DeviceMemoryType1EEvPT_PKT0_T1_S3_S3_S6_S6_.uses_flat_scratch, 0
	.set _Z8bincountIifiL16DeviceMemoryType1EEvPT_PKT0_T1_S3_S3_S6_S6_.has_dyn_sized_stack, 0
	.set _Z8bincountIifiL16DeviceMemoryType1EEvPT_PKT0_T1_S3_S3_S6_S6_.has_recursion, 0
	.set _Z8bincountIifiL16DeviceMemoryType1EEvPT_PKT0_T1_S3_S3_S6_S6_.has_indirect_call, 0
	.section	.AMDGPU.csdata,"",@progbits
; Kernel info:
; codeLenInByte = 376
; TotalNumSgprs: 18
; NumVgprs: 8
; ScratchSize: 0
; MemoryBound: 0
; FloatMode: 240
; IeeeMode: 1
; LDSByteSize: 0 bytes/workgroup (compile time only)
; SGPRBlocks: 0
; VGPRBlocks: 0
; NumSGPRsForWavesPerEU: 18
; NumVGPRsForWavesPerEU: 8
; NamedBarCnt: 0
; Occupancy: 16
; WaveLimiterHint : 1
; COMPUTE_PGM_RSRC2:SCRATCH_EN: 0
; COMPUTE_PGM_RSRC2:USER_SGPR: 2
; COMPUTE_PGM_RSRC2:TRAP_HANDLER: 0
; COMPUTE_PGM_RSRC2:TGID_X_EN: 1
; COMPUTE_PGM_RSRC2:TGID_Y_EN: 0
; COMPUTE_PGM_RSRC2:TGID_Z_EN: 0
; COMPUTE_PGM_RSRC2:TIDIG_COMP_CNT: 0
	.section	.AMDGPU.gpr_maximums,"",@progbits
	.set amdgpu.max_num_vgpr, 0
	.set amdgpu.max_num_agpr, 0
	.set amdgpu.max_num_sgpr, 0
	.section	.AMDGPU.csdata,"",@progbits
	.type	__hip_cuid_5cb162b619c7b762,@object ; @__hip_cuid_5cb162b619c7b762
	.section	.bss,"aw",@nobits
	.globl	__hip_cuid_5cb162b619c7b762
__hip_cuid_5cb162b619c7b762:
	.byte	0                               ; 0x0
	.size	__hip_cuid_5cb162b619c7b762, 1

	.ident	"AMD clang version 22.0.0git (https://github.com/RadeonOpenCompute/llvm-project roc-7.2.4 26084 f58b06dce1f9c15707c5f808fd002e18c2accf7e)"
	.section	".note.GNU-stack","",@progbits
	.addrsig
	.addrsig_sym my_smem
	.addrsig_sym __hip_cuid_5cb162b619c7b762
	.amdgpu_metadata
---
amdhsa.kernels:
  - .args:
      - .address_space:  global
        .offset:         0
        .size:           8
        .value_kind:     global_buffer
      - .address_space:  global
        .offset:         8
        .size:           8
        .value_kind:     global_buffer
      - .offset:         16
        .size:           4
        .value_kind:     by_value
      - .offset:         20
        .size:           4
        .value_kind:     by_value
      - .offset:         24
        .size:           4
        .value_kind:     by_value
      - .offset:         28
        .size:           4
        .value_kind:     by_value
      - .offset:         32
        .size:           4
        .value_kind:     by_value
      - .offset:         40
        .size:           4
        .value_kind:     hidden_block_count_x
      - .offset:         44
        .size:           4
        .value_kind:     hidden_block_count_y
      - .offset:         48
        .size:           4
        .value_kind:     hidden_block_count_z
      - .offset:         52
        .size:           2
        .value_kind:     hidden_group_size_x
      - .offset:         54
        .size:           2
        .value_kind:     hidden_group_size_y
      - .offset:         56
        .size:           2
        .value_kind:     hidden_group_size_z
      - .offset:         58
        .size:           2
        .value_kind:     hidden_remainder_x
      - .offset:         60
        .size:           2
        .value_kind:     hidden_remainder_y
      - .offset:         62
        .size:           2
        .value_kind:     hidden_remainder_z
      - .offset:         80
        .size:           8
        .value_kind:     hidden_global_offset_x
      - .offset:         88
        .size:           8
        .value_kind:     hidden_global_offset_y
      - .offset:         96
        .size:           8
        .value_kind:     hidden_global_offset_z
      - .offset:         104
        .size:           2
        .value_kind:     hidden_grid_dims
      - .offset:         160
        .size:           4
        .value_kind:     hidden_dynamic_lds_size
    .group_segment_fixed_size: 0
    .kernarg_segment_align: 8
    .kernarg_segment_size: 296
    .language:       OpenCL C
    .language_version:
      - 2
      - 0
    .max_flat_workgroup_size: 1024
    .name:           _Z8bincountIifiL16DeviceMemoryType0EEvPT_PKT0_T1_S3_S3_S6_S6_
    .private_segment_fixed_size: 0
    .sgpr_count:     17
    .sgpr_spill_count: 0
    .symbol:         _Z8bincountIifiL16DeviceMemoryType0EEvPT_PKT0_T1_S3_S3_S6_S6_.kd
    .uniform_work_group_size: 1
    .uses_dynamic_stack: false
    .vgpr_count:     12
    .vgpr_spill_count: 0
    .wavefront_size: 32
  - .args:
      - .address_space:  global
        .offset:         0
        .size:           8
        .value_kind:     global_buffer
      - .address_space:  global
        .offset:         8
        .size:           8
        .value_kind:     global_buffer
      - .offset:         16
        .size:           4
        .value_kind:     by_value
      - .offset:         20
        .size:           4
        .value_kind:     by_value
      - .offset:         24
        .size:           4
        .value_kind:     by_value
      - .offset:         28
        .size:           4
        .value_kind:     by_value
      - .offset:         32
        .size:           4
        .value_kind:     by_value
      - .offset:         40
        .size:           4
        .value_kind:     hidden_block_count_x
      - .offset:         44
        .size:           4
        .value_kind:     hidden_block_count_y
      - .offset:         48
        .size:           4
        .value_kind:     hidden_block_count_z
      - .offset:         52
        .size:           2
        .value_kind:     hidden_group_size_x
      - .offset:         54
        .size:           2
        .value_kind:     hidden_group_size_y
      - .offset:         56
        .size:           2
        .value_kind:     hidden_group_size_z
      - .offset:         58
        .size:           2
        .value_kind:     hidden_remainder_x
      - .offset:         60
        .size:           2
        .value_kind:     hidden_remainder_y
      - .offset:         62
        .size:           2
        .value_kind:     hidden_remainder_z
      - .offset:         80
        .size:           8
        .value_kind:     hidden_global_offset_x
      - .offset:         88
        .size:           8
        .value_kind:     hidden_global_offset_y
      - .offset:         96
        .size:           8
        .value_kind:     hidden_global_offset_z
      - .offset:         104
        .size:           2
        .value_kind:     hidden_grid_dims
    .group_segment_fixed_size: 0
    .kernarg_segment_align: 8
    .kernarg_segment_size: 296
    .language:       OpenCL C
    .language_version:
      - 2
      - 0
    .max_flat_workgroup_size: 1024
    .name:           _Z8bincountIifiL16DeviceMemoryType1EEvPT_PKT0_T1_S3_S3_S6_S6_
    .private_segment_fixed_size: 0
    .sgpr_count:     18
    .sgpr_spill_count: 0
    .symbol:         _Z8bincountIifiL16DeviceMemoryType1EEvPT_PKT0_T1_S3_S3_S6_S6_.kd
    .uniform_work_group_size: 1
    .uses_dynamic_stack: false
    .vgpr_count:     8
    .vgpr_spill_count: 0
    .wavefront_size: 32
amdhsa.target:   amdgcn-amd-amdhsa--gfx1250
amdhsa.version:
  - 1
  - 2
...

	.end_amdgpu_metadata
